;; amdgpu-corpus repo=ROCm/rocFFT kind=compiled arch=gfx1030 opt=O3
	.text
	.amdgcn_target "amdgcn-amd-amdhsa--gfx1030"
	.amdhsa_code_object_version 6
	.protected	fft_rtc_back_len1716_factors_13_2_6_11_wgs_156_tpt_156_dp_ip_CI_sbrr_dirReg ; -- Begin function fft_rtc_back_len1716_factors_13_2_6_11_wgs_156_tpt_156_dp_ip_CI_sbrr_dirReg
	.globl	fft_rtc_back_len1716_factors_13_2_6_11_wgs_156_tpt_156_dp_ip_CI_sbrr_dirReg
	.p2align	8
	.type	fft_rtc_back_len1716_factors_13_2_6_11_wgs_156_tpt_156_dp_ip_CI_sbrr_dirReg,@function
fft_rtc_back_len1716_factors_13_2_6_11_wgs_156_tpt_156_dp_ip_CI_sbrr_dirReg: ; @fft_rtc_back_len1716_factors_13_2_6_11_wgs_156_tpt_156_dp_ip_CI_sbrr_dirReg
; %bb.0:
	s_clause 0x2
	s_load_dwordx2 s[14:15], s[4:5], 0x18
	s_load_dwordx4 s[8:11], s[4:5], 0x0
	s_load_dwordx2 s[12:13], s[4:5], 0x50
	v_mul_u32_u24_e32 v1, 0x1a5, v0
	v_mov_b32_e32 v3, 0
	v_add_nc_u32_sdwa v5, s6, v1 dst_sel:DWORD dst_unused:UNUSED_PAD src0_sel:DWORD src1_sel:WORD_1
	v_mov_b32_e32 v1, 0
	v_mov_b32_e32 v6, v3
	v_mov_b32_e32 v2, 0
	s_waitcnt lgkmcnt(0)
	s_load_dwordx2 s[2:3], s[14:15], 0x0
	v_cmp_lt_u64_e64 s0, s[10:11], 2
	s_and_b32 vcc_lo, exec_lo, s0
	s_cbranch_vccnz .LBB0_8
; %bb.1:
	s_load_dwordx2 s[0:1], s[4:5], 0x10
	v_mov_b32_e32 v1, 0
	s_add_u32 s6, s14, 8
	v_mov_b32_e32 v2, 0
	s_addc_u32 s7, s15, 0
	s_mov_b64 s[18:19], 1
	s_waitcnt lgkmcnt(0)
	s_add_u32 s16, s0, 8
	s_addc_u32 s17, s1, 0
.LBB0_2:                                ; =>This Inner Loop Header: Depth=1
	s_load_dwordx2 s[20:21], s[16:17], 0x0
                                        ; implicit-def: $vgpr7_vgpr8
	s_mov_b32 s0, exec_lo
	s_waitcnt lgkmcnt(0)
	v_or_b32_e32 v4, s21, v6
	v_cmpx_ne_u64_e32 0, v[3:4]
	s_xor_b32 s1, exec_lo, s0
	s_cbranch_execz .LBB0_4
; %bb.3:                                ;   in Loop: Header=BB0_2 Depth=1
	v_cvt_f32_u32_e32 v4, s20
	v_cvt_f32_u32_e32 v7, s21
	s_sub_u32 s0, 0, s20
	s_subb_u32 s22, 0, s21
	v_fmac_f32_e32 v4, 0x4f800000, v7
	v_rcp_f32_e32 v4, v4
	v_mul_f32_e32 v4, 0x5f7ffffc, v4
	v_mul_f32_e32 v7, 0x2f800000, v4
	v_trunc_f32_e32 v7, v7
	v_fmac_f32_e32 v4, 0xcf800000, v7
	v_cvt_u32_f32_e32 v7, v7
	v_cvt_u32_f32_e32 v4, v4
	v_mul_lo_u32 v8, s0, v7
	v_mul_hi_u32 v9, s0, v4
	v_mul_lo_u32 v10, s22, v4
	v_add_nc_u32_e32 v8, v9, v8
	v_mul_lo_u32 v9, s0, v4
	v_add_nc_u32_e32 v8, v8, v10
	v_mul_hi_u32 v10, v4, v9
	v_mul_lo_u32 v11, v4, v8
	v_mul_hi_u32 v12, v4, v8
	v_mul_hi_u32 v13, v7, v9
	v_mul_lo_u32 v9, v7, v9
	v_mul_hi_u32 v14, v7, v8
	v_mul_lo_u32 v8, v7, v8
	v_add_co_u32 v10, vcc_lo, v10, v11
	v_add_co_ci_u32_e32 v11, vcc_lo, 0, v12, vcc_lo
	v_add_co_u32 v9, vcc_lo, v10, v9
	v_add_co_ci_u32_e32 v9, vcc_lo, v11, v13, vcc_lo
	v_add_co_ci_u32_e32 v10, vcc_lo, 0, v14, vcc_lo
	v_add_co_u32 v8, vcc_lo, v9, v8
	v_add_co_ci_u32_e32 v9, vcc_lo, 0, v10, vcc_lo
	v_add_co_u32 v4, vcc_lo, v4, v8
	v_add_co_ci_u32_e32 v7, vcc_lo, v7, v9, vcc_lo
	v_mul_hi_u32 v8, s0, v4
	v_mul_lo_u32 v10, s22, v4
	v_mul_lo_u32 v9, s0, v7
	v_add_nc_u32_e32 v8, v8, v9
	v_mul_lo_u32 v9, s0, v4
	v_add_nc_u32_e32 v8, v8, v10
	v_mul_hi_u32 v10, v4, v9
	v_mul_lo_u32 v11, v4, v8
	v_mul_hi_u32 v12, v4, v8
	v_mul_hi_u32 v13, v7, v9
	v_mul_lo_u32 v9, v7, v9
	v_mul_hi_u32 v14, v7, v8
	v_mul_lo_u32 v8, v7, v8
	v_add_co_u32 v10, vcc_lo, v10, v11
	v_add_co_ci_u32_e32 v11, vcc_lo, 0, v12, vcc_lo
	v_add_co_u32 v9, vcc_lo, v10, v9
	v_add_co_ci_u32_e32 v9, vcc_lo, v11, v13, vcc_lo
	v_add_co_ci_u32_e32 v10, vcc_lo, 0, v14, vcc_lo
	v_add_co_u32 v8, vcc_lo, v9, v8
	v_add_co_ci_u32_e32 v9, vcc_lo, 0, v10, vcc_lo
	v_add_co_u32 v4, vcc_lo, v4, v8
	v_add_co_ci_u32_e32 v11, vcc_lo, v7, v9, vcc_lo
	v_mul_hi_u32 v13, v5, v4
	v_mad_u64_u32 v[9:10], null, v6, v4, 0
	v_mad_u64_u32 v[7:8], null, v5, v11, 0
	;; [unrolled: 1-line block ×3, first 2 shown]
	v_add_co_u32 v4, vcc_lo, v13, v7
	v_add_co_ci_u32_e32 v7, vcc_lo, 0, v8, vcc_lo
	v_add_co_u32 v4, vcc_lo, v4, v9
	v_add_co_ci_u32_e32 v4, vcc_lo, v7, v10, vcc_lo
	v_add_co_ci_u32_e32 v7, vcc_lo, 0, v12, vcc_lo
	v_add_co_u32 v4, vcc_lo, v4, v11
	v_add_co_ci_u32_e32 v9, vcc_lo, 0, v7, vcc_lo
	v_mul_lo_u32 v10, s21, v4
	v_mad_u64_u32 v[7:8], null, s20, v4, 0
	v_mul_lo_u32 v11, s20, v9
	v_sub_co_u32 v7, vcc_lo, v5, v7
	v_add3_u32 v8, v8, v11, v10
	v_sub_nc_u32_e32 v10, v6, v8
	v_subrev_co_ci_u32_e64 v10, s0, s21, v10, vcc_lo
	v_add_co_u32 v11, s0, v4, 2
	v_add_co_ci_u32_e64 v12, s0, 0, v9, s0
	v_sub_co_u32 v13, s0, v7, s20
	v_sub_co_ci_u32_e32 v8, vcc_lo, v6, v8, vcc_lo
	v_subrev_co_ci_u32_e64 v10, s0, 0, v10, s0
	v_cmp_le_u32_e32 vcc_lo, s20, v13
	v_cmp_eq_u32_e64 s0, s21, v8
	v_cndmask_b32_e64 v13, 0, -1, vcc_lo
	v_cmp_le_u32_e32 vcc_lo, s21, v10
	v_cndmask_b32_e64 v14, 0, -1, vcc_lo
	v_cmp_le_u32_e32 vcc_lo, s20, v7
	;; [unrolled: 2-line block ×3, first 2 shown]
	v_cndmask_b32_e64 v15, 0, -1, vcc_lo
	v_cmp_eq_u32_e32 vcc_lo, s21, v10
	v_cndmask_b32_e64 v7, v15, v7, s0
	v_cndmask_b32_e32 v10, v14, v13, vcc_lo
	v_add_co_u32 v13, vcc_lo, v4, 1
	v_add_co_ci_u32_e32 v14, vcc_lo, 0, v9, vcc_lo
	v_cmp_ne_u32_e32 vcc_lo, 0, v10
	v_cndmask_b32_e32 v8, v14, v12, vcc_lo
	v_cndmask_b32_e32 v10, v13, v11, vcc_lo
	v_cmp_ne_u32_e32 vcc_lo, 0, v7
	v_cndmask_b32_e32 v8, v9, v8, vcc_lo
	v_cndmask_b32_e32 v7, v4, v10, vcc_lo
.LBB0_4:                                ;   in Loop: Header=BB0_2 Depth=1
	s_andn2_saveexec_b32 s0, s1
	s_cbranch_execz .LBB0_6
; %bb.5:                                ;   in Loop: Header=BB0_2 Depth=1
	v_cvt_f32_u32_e32 v4, s20
	s_sub_i32 s1, 0, s20
	v_rcp_iflag_f32_e32 v4, v4
	v_mul_f32_e32 v4, 0x4f7ffffe, v4
	v_cvt_u32_f32_e32 v4, v4
	v_mul_lo_u32 v7, s1, v4
	v_mul_hi_u32 v7, v4, v7
	v_add_nc_u32_e32 v4, v4, v7
	v_mul_hi_u32 v4, v5, v4
	v_mul_lo_u32 v7, v4, s20
	v_add_nc_u32_e32 v8, 1, v4
	v_sub_nc_u32_e32 v7, v5, v7
	v_subrev_nc_u32_e32 v9, s20, v7
	v_cmp_le_u32_e32 vcc_lo, s20, v7
	v_cndmask_b32_e32 v7, v7, v9, vcc_lo
	v_cndmask_b32_e32 v4, v4, v8, vcc_lo
	v_cmp_le_u32_e32 vcc_lo, s20, v7
	v_add_nc_u32_e32 v8, 1, v4
	v_cndmask_b32_e32 v7, v4, v8, vcc_lo
	v_mov_b32_e32 v8, v3
.LBB0_6:                                ;   in Loop: Header=BB0_2 Depth=1
	s_or_b32 exec_lo, exec_lo, s0
	s_load_dwordx2 s[0:1], s[6:7], 0x0
	v_mul_lo_u32 v4, v8, s20
	v_mul_lo_u32 v11, v7, s21
	v_mad_u64_u32 v[9:10], null, v7, s20, 0
	s_add_u32 s18, s18, 1
	s_addc_u32 s19, s19, 0
	s_add_u32 s6, s6, 8
	s_addc_u32 s7, s7, 0
	;; [unrolled: 2-line block ×3, first 2 shown]
	v_add3_u32 v4, v10, v11, v4
	v_sub_co_u32 v5, vcc_lo, v5, v9
	v_sub_co_ci_u32_e32 v4, vcc_lo, v6, v4, vcc_lo
	s_waitcnt lgkmcnt(0)
	v_mul_lo_u32 v6, s1, v5
	v_mul_lo_u32 v4, s0, v4
	v_mad_u64_u32 v[1:2], null, s0, v5, v[1:2]
	v_cmp_ge_u64_e64 s0, s[18:19], s[10:11]
	s_and_b32 vcc_lo, exec_lo, s0
	v_add3_u32 v2, v6, v2, v4
	s_cbranch_vccnz .LBB0_9
; %bb.7:                                ;   in Loop: Header=BB0_2 Depth=1
	v_mov_b32_e32 v5, v7
	v_mov_b32_e32 v6, v8
	s_branch .LBB0_2
.LBB0_8:
	v_mov_b32_e32 v8, v6
	v_mov_b32_e32 v7, v5
.LBB0_9:
	s_lshl_b64 s[0:1], s[10:11], 3
	v_mul_hi_u32 v3, 0x1a41a42, v0
	s_add_u32 s0, s14, s0
	s_addc_u32 s1, s15, s1
	v_mov_b32_e32 v158, 0
	s_load_dwordx2 s[0:1], s[0:1], 0x0
	s_load_dwordx2 s[4:5], s[4:5], 0x20
                                        ; implicit-def: $vgpr10_vgpr11
                                        ; implicit-def: $vgpr14_vgpr15
                                        ; implicit-def: $vgpr18_vgpr19
                                        ; implicit-def: $vgpr22_vgpr23
                                        ; implicit-def: $vgpr46_vgpr47
                                        ; implicit-def: $vgpr42_vgpr43
                                        ; implicit-def: $vgpr50_vgpr51
                                        ; implicit-def: $vgpr30_vgpr31
                                        ; implicit-def: $vgpr38_vgpr39
                                        ; implicit-def: $vgpr34_vgpr35
                                        ; implicit-def: $vgpr58_vgpr59
                                        ; implicit-def: $vgpr54_vgpr55
	s_waitcnt lgkmcnt(0)
	v_mul_lo_u32 v4, s0, v8
	v_mul_lo_u32 v5, s1, v7
	v_mad_u64_u32 v[84:85], null, s0, v7, v[1:2]
	v_mul_u32_u24_e32 v1, 0x9c, v3
	v_cmp_gt_u64_e32 vcc_lo, s[4:5], v[7:8]
                                        ; implicit-def: $vgpr2_vgpr3
	v_sub_nc_u32_e32 v159, v0, v1
	v_add3_u32 v85, v5, v85, v4
	s_and_saveexec_b32 s1, vcc_lo
	s_cbranch_execz .LBB0_13
; %bb.10:
	s_mov_b32 s4, exec_lo
                                        ; implicit-def: $vgpr0_vgpr1
                                        ; implicit-def: $vgpr52_vgpr53
                                        ; implicit-def: $vgpr56_vgpr57
                                        ; implicit-def: $vgpr32_vgpr33
                                        ; implicit-def: $vgpr36_vgpr37
                                        ; implicit-def: $vgpr28_vgpr29
                                        ; implicit-def: $vgpr48_vgpr49
                                        ; implicit-def: $vgpr40_vgpr41
                                        ; implicit-def: $vgpr44_vgpr45
                                        ; implicit-def: $vgpr20_vgpr21
                                        ; implicit-def: $vgpr16_vgpr17
                                        ; implicit-def: $vgpr12_vgpr13
                                        ; implicit-def: $vgpr8_vgpr9
	v_cmpx_gt_u32_e32 0x84, v159
	s_cbranch_execz .LBB0_12
; %bb.11:
	v_add_nc_u32_e32 v9, 0x84, v159
	v_mad_u64_u32 v[0:1], null, s2, v159, 0
	v_add_nc_u32_e32 v12, 0x108, v159
	v_add_nc_u32_e32 v13, 0x18c, v159
	v_mad_u64_u32 v[2:3], null, s2, v9, 0
	v_lshlrev_b64 v[4:5], 4, v[84:85]
	v_add_nc_u32_e32 v14, 0x210, v159
	v_add_nc_u32_e32 v17, 0x294, v159
	;; [unrolled: 1-line block ×5, first 2 shown]
	v_mad_u64_u32 v[6:7], null, s3, v159, v[1:2]
	v_mov_b32_e32 v1, v3
	v_mad_u64_u32 v[7:8], null, s2, v12, 0
	v_add_co_u32 v21, s0, s12, v4
	v_mad_u64_u32 v[9:10], null, s3, v9, v[1:2]
	v_mad_u64_u32 v[10:11], null, s2, v13, 0
	v_mov_b32_e32 v1, v6
	v_add_co_ci_u32_e64 v22, s0, s13, v5, s0
	v_mov_b32_e32 v4, v8
	v_mov_b32_e32 v3, v9
	v_lshlrev_b64 v[0:1], 4, v[0:1]
	v_mov_b32_e32 v5, v11
	v_add_nc_u32_e32 v24, 0x630, v159
	v_lshlrev_b64 v[2:3], 4, v[2:3]
	v_mad_u64_u32 v[8:9], null, s3, v12, v[4:5]
	v_add_co_u32 v0, s0, v21, v0
	v_mad_u64_u32 v[4:5], null, s3, v13, v[5:6]
	v_mad_u64_u32 v[5:6], null, s2, v14, 0
	v_add_co_ci_u32_e64 v1, s0, v22, v1, s0
	v_add_co_u32 v11, s0, v21, v2
	v_add_co_ci_u32_e64 v12, s0, v22, v3, s0
	s_clause 0x1
	global_load_dwordx4 v[0:3], v[0:1], off
	global_load_dwordx4 v[52:55], v[11:12], off
	v_mov_b32_e32 v11, v4
	v_mov_b32_e32 v4, v6
	v_mad_u64_u32 v[12:13], null, s2, v17, 0
	v_lshlrev_b64 v[7:8], 4, v[7:8]
	v_lshlrev_b64 v[9:10], 4, v[10:11]
	v_mad_u64_u32 v[14:15], null, s3, v14, v[4:5]
	v_add_nc_u32_e32 v11, 0x318, v159
	v_mov_b32_e32 v4, v13
	v_add_co_u32 v7, s0, v21, v7
	v_mad_u64_u32 v[15:16], null, s2, v11, 0
	v_mov_b32_e32 v6, v14
	v_add_co_ci_u32_e64 v8, s0, v22, v8, s0
	v_mad_u64_u32 v[13:14], null, s3, v17, v[4:5]
	v_mad_u64_u32 v[17:18], null, s2, v19, 0
	v_add_co_u32 v9, s0, v21, v9
	v_lshlrev_b64 v[5:6], 4, v[5:6]
	v_mov_b32_e32 v4, v16
	v_add_co_ci_u32_e64 v10, s0, v22, v10, s0
	s_clause 0x1
	global_load_dwordx4 v[56:59], v[7:8], off
	global_load_dwordx4 v[32:35], v[9:10], off
	v_mad_u64_u32 v[7:8], null, s3, v11, v[4:5]
	v_mov_b32_e32 v4, v18
	v_add_co_u32 v5, s0, v21, v5
	v_lshlrev_b64 v[8:9], 4, v[12:13]
	v_add_co_ci_u32_e64 v6, s0, v22, v6, s0
	v_mad_u64_u32 v[10:11], null, s3, v19, v[4:5]
	v_add_nc_u32_e32 v19, 0x420, v159
	v_mov_b32_e32 v16, v7
	v_add_co_u32 v7, s0, v21, v8
	v_add_co_ci_u32_e64 v8, s0, v22, v9, s0
	v_mad_u64_u32 v[13:14], null, s2, v19, 0
	v_lshlrev_b64 v[11:12], 4, v[15:16]
	v_mov_b32_e32 v18, v10
	s_clause 0x1
	global_load_dwordx4 v[36:39], v[5:6], off
	global_load_dwordx4 v[28:31], v[7:8], off
	v_mad_u64_u32 v[15:16], null, s2, v20, 0
	v_add_co_u32 v4, s0, v21, v11
	v_lshlrev_b64 v[7:8], 4, v[17:18]
	v_mov_b32_e32 v6, v14
	v_add_co_ci_u32_e64 v5, s0, v22, v12, s0
	v_add_nc_u32_e32 v12, 0x4a4, v159
	v_mad_u64_u32 v[17:18], null, s2, v23, 0
	v_mad_u64_u32 v[9:10], null, s3, v19, v[6:7]
	v_mad_u64_u32 v[10:11], null, s2, v12, 0
	v_add_co_u32 v6, s0, v21, v7
	v_add_co_ci_u32_e64 v7, s0, v22, v8, s0
	v_mov_b32_e32 v14, v9
	v_mov_b32_e32 v9, v16
	;; [unrolled: 1-line block ×3, first 2 shown]
	s_clause 0x1
	global_load_dwordx4 v[48:51], v[4:5], off
	global_load_dwordx4 v[40:43], v[6:7], off
	v_mov_b32_e32 v4, v18
	v_lshlrev_b64 v[5:6], 4, v[13:14]
	v_mad_u64_u32 v[11:12], null, s3, v12, v[8:9]
	v_mad_u64_u32 v[8:9], null, s3, v20, v[9:10]
	;; [unrolled: 1-line block ×3, first 2 shown]
	v_mov_b32_e32 v16, v8
	v_mad_u64_u32 v[7:8], null, s3, v23, v[4:5]
	v_mov_b32_e32 v4, v20
	v_add_co_u32 v5, s0, v21, v5
	v_lshlrev_b64 v[8:9], 4, v[10:11]
	v_add_co_ci_u32_e64 v6, s0, v22, v6, s0
	v_mad_u64_u32 v[10:11], null, s3, v24, v[4:5]
	v_lshlrev_b64 v[11:12], 4, v[15:16]
	v_mov_b32_e32 v18, v7
	v_add_co_u32 v7, s0, v21, v8
	v_add_co_ci_u32_e64 v8, s0, v22, v9, s0
	v_mov_b32_e32 v20, v10
	v_lshlrev_b64 v[13:14], 4, v[17:18]
	v_add_co_u32 v9, s0, v21, v11
	v_add_co_ci_u32_e64 v10, s0, v22, v12, s0
	v_lshlrev_b64 v[11:12], 4, v[19:20]
	v_add_co_u32 v13, s0, v21, v13
	v_add_co_ci_u32_e64 v14, s0, v22, v14, s0
	v_add_co_u32 v24, s0, v21, v11
	v_add_co_ci_u32_e64 v25, s0, v22, v12, s0
	s_clause 0x4
	global_load_dwordx4 v[44:47], v[5:6], off
	global_load_dwordx4 v[20:23], v[7:8], off
	;; [unrolled: 1-line block ×5, first 2 shown]
.LBB0_12:
	s_or_b32 exec_lo, exec_lo, s4
	v_mov_b32_e32 v158, v159
.LBB0_13:
	s_or_b32 exec_lo, exec_lo, s1
	s_waitcnt vmcnt(0)
	v_add_f64 v[64:65], v[54:55], -v[10:11]
	v_add_f64 v[132:133], v[52:53], -v[8:9]
	s_mov_b32 s4, 0x42a4c3d2
	s_mov_b32 s6, 0x66966769
	s_mov_b32 s5, 0xbfea55e2
	s_mov_b32 s7, 0xbfefc445
	v_add_f64 v[152:153], v[8:9], v[52:53]
	v_add_f64 v[60:61], v[58:59], -v[14:15]
	v_add_f64 v[66:67], v[10:11], v[54:55]
	v_add_f64 v[62:63], v[56:57], -v[12:13]
	s_mov_b32 s10, 0x1ea71119
	s_mov_b32 s18, 0x2ef20147
	;; [unrolled: 1-line block ×8, first 2 shown]
	v_add_f64 v[120:121], v[12:13], v[56:57]
	v_add_f64 v[86:87], v[14:15], v[58:59]
	v_add_f64 v[74:75], v[34:35], -v[18:19]
	v_add_f64 v[94:95], v[32:33], -v[16:17]
	v_mul_f64 v[148:149], v[64:65], s[4:5]
	v_mul_f64 v[150:151], v[132:133], s[4:5]
	;; [unrolled: 1-line block ×4, first 2 shown]
	s_mov_b32 s20, 0xb2365da1
	s_mov_b32 s16, 0x93053d00
	;; [unrolled: 1-line block ×3, first 2 shown]
	v_mul_f64 v[88:89], v[60:61], s[18:19]
	v_mul_f64 v[136:137], v[60:61], s[14:15]
	;; [unrolled: 1-line block ×4, first 2 shown]
	s_mov_b32 s17, 0xbfef11f4
	s_mov_b32 s25, 0x3fedeba7
	;; [unrolled: 1-line block ×3, first 2 shown]
	v_add_f64 v[114:115], v[16:17], v[32:33]
	v_add_f64 v[82:83], v[18:19], v[34:35]
	v_add_f64 v[68:69], v[38:39], -v[22:23]
	v_add_f64 v[90:91], v[36:37], -v[20:21]
	s_mov_b32 s22, 0x24c2f84
	s_mov_b32 s30, 0x4267c47c
	v_mul_f64 v[102:103], v[74:75], s[14:15]
	v_mul_f64 v[124:125], v[94:95], s[14:15]
	v_fma_f64 v[4:5], v[152:153], s[10:11], -v[148:149]
	v_fma_f64 v[6:7], v[66:67], s[10:11], v[150:151]
	v_fma_f64 v[24:25], v[152:153], s[26:27], -v[154:155]
	v_fma_f64 v[26:27], v[66:67], s[26:27], v[156:157]
	v_mul_f64 v[138:139], v[74:75], s[24:25]
	v_mul_f64 v[144:145], v[94:95], s[24:25]
	s_mov_b32 s23, 0x3fe5384d
	v_fma_f64 v[72:73], v[120:121], s[20:21], -v[88:89]
	v_fma_f64 v[80:81], v[120:121], s[16:17], -v[136:137]
	v_fma_f64 v[78:79], v[86:87], s[20:21], v[116:117]
	v_fma_f64 v[98:99], v[86:87], s[16:17], v[142:143]
	s_mov_b32 s31, 0x3fddbe06
	v_add_f64 v[118:119], v[20:21], v[36:37]
	v_add_f64 v[76:77], v[22:23], v[38:39]
	v_add_f64 v[70:71], v[30:31], -v[46:47]
	v_add_f64 v[92:93], v[28:29], -v[44:45]
	v_mul_f64 v[96:97], v[68:69], s[22:23]
	v_mul_f64 v[106:107], v[90:91], s[22:23]
	;; [unrolled: 1-line block ×4, first 2 shown]
	v_fma_f64 v[100:101], v[114:115], s[16:17], -v[102:103]
	v_fma_f64 v[108:109], v[82:83], s[16:17], v[124:125]
	v_add_f64 v[4:5], v[0:1], v[4:5]
	v_add_f64 v[6:7], v[2:3], v[6:7]
	;; [unrolled: 1-line block ×4, first 2 shown]
	v_fma_f64 v[112:113], v[114:115], s[20:21], -v[138:139]
	v_fma_f64 v[128:129], v[82:83], s[20:21], v[144:145]
	s_mov_b32 s28, 0xd0032e0c
	s_mov_b32 s38, 0xe00740e9
	;; [unrolled: 1-line block ×6, first 2 shown]
	v_add_f64 v[126:127], v[44:45], v[28:29]
	s_mov_b32 s35, 0xbfe5384d
	v_mul_f64 v[104:105], v[70:71], s[36:37]
	v_mul_f64 v[110:111], v[92:93], s[36:37]
	;; [unrolled: 1-line block ×4, first 2 shown]
	v_fma_f64 v[160:161], v[118:119], s[28:29], -v[96:97]
	v_fma_f64 v[162:163], v[76:77], s[28:29], v[106:107]
	v_fma_f64 v[164:165], v[118:119], s[38:39], -v[140:141]
	v_fma_f64 v[166:167], v[76:77], s[38:39], v[146:147]
	v_add_f64 v[4:5], v[72:73], v[4:5]
	v_add_f64 v[6:7], v[78:79], v[6:7]
	;; [unrolled: 1-line block ×5, first 2 shown]
	v_add_f64 v[72:73], v[50:51], -v[42:43]
	v_add_f64 v[98:99], v[48:49], -v[40:41]
	s_mov_b32 s34, s22
	v_add_f64 v[80:81], v[42:43], v[50:51]
	s_mov_b32 s33, exec_lo
	v_fma_f64 v[168:169], v[126:127], s[26:27], -v[104:105]
	v_fma_f64 v[172:173], v[126:127], s[10:11], -v[122:123]
	v_add_f64 v[4:5], v[100:101], v[4:5]
	v_add_f64 v[6:7], v[108:109], v[6:7]
	v_add_f64 v[24:25], v[112:113], v[24:25]
	v_add_f64 v[26:27], v[128:129], v[26:27]
	v_add_f64 v[128:129], v[40:41], v[48:49]
	v_mul_f64 v[100:101], v[72:73], s[30:31]
	v_mul_f64 v[108:109], v[98:99], s[30:31]
	;; [unrolled: 1-line block ×4, first 2 shown]
	v_fma_f64 v[170:171], v[78:79], s[26:27], v[110:111]
	v_fma_f64 v[174:175], v[78:79], s[10:11], v[134:135]
	v_add_f64 v[4:5], v[160:161], v[4:5]
	v_add_f64 v[6:7], v[162:163], v[6:7]
	;; [unrolled: 1-line block ×4, first 2 shown]
	v_fma_f64 v[160:161], v[128:129], s[38:39], -v[100:101]
	v_fma_f64 v[162:163], v[80:81], s[38:39], v[108:109]
	v_fma_f64 v[164:165], v[128:129], s[28:29], -v[112:113]
	v_fma_f64 v[166:167], v[80:81], s[28:29], v[130:131]
	v_add_f64 v[4:5], v[168:169], v[4:5]
	v_add_f64 v[6:7], v[170:171], v[6:7]
	;; [unrolled: 1-line block ×8, first 2 shown]
	v_cmpx_gt_u32_e32 0x84, v159
	s_cbranch_execz .LBB0_15
; %bb.14:
	v_add_f64 v[54:55], v[54:55], v[2:3]
	v_add_f64 v[52:53], v[52:53], v[0:1]
	v_mul_f64 v[160:161], v[132:133], s[14:15]
	v_mul_f64 v[162:163], v[152:153], s[16:17]
	;; [unrolled: 1-line block ×3, first 2 shown]
	s_mov_b32 s1, 0x3fcea1e5
	s_mov_b32 s0, s14
	v_mul_f64 v[176:177], v[62:63], s[30:31]
	v_mul_f64 v[182:183], v[120:121], s[38:39]
	;; [unrolled: 1-line block ×4, first 2 shown]
	s_mov_b32 s43, 0xbfddbe06
	s_mov_b32 s42, s30
	v_mul_f64 v[164:165], v[152:153], s[10:11]
	v_mul_f64 v[166:167], v[66:67], s[10:11]
	;; [unrolled: 1-line block ×9, first 2 shown]
	v_add_f64 v[54:55], v[58:59], v[54:55]
	v_add_f64 v[52:53], v[56:57], v[52:53]
	v_mul_f64 v[56:57], v[152:153], s[28:29]
	v_fma_f64 v[216:217], v[66:67], s[16:17], v[160:161]
	v_fma_f64 v[218:219], v[64:65], s[0:1], v[162:163]
	;; [unrolled: 1-line block ×3, first 2 shown]
	v_add_f64 v[156:157], v[170:171], -v[156:157]
	v_mul_f64 v[152:153], v[152:153], s[38:39]
	v_fma_f64 v[160:161], v[66:67], s[16:17], -v[160:161]
	v_fma_f64 v[226:227], v[86:87], s[38:39], v[176:177]
	v_fma_f64 v[228:229], v[60:61], s[42:43], v[182:183]
	;; [unrolled: 1-line block ×6, first 2 shown]
	s_mov_b32 s41, 0x3fea55e2
	s_mov_b32 s40, s4
	v_mul_f64 v[178:179], v[118:119], s[10:11]
	v_mul_f64 v[196:197], v[62:63], s[22:23]
	;; [unrolled: 1-line block ×5, first 2 shown]
	v_add_f64 v[34:35], v[34:35], v[54:55]
	v_add_f64 v[32:33], v[32:33], v[52:53]
	v_fma_f64 v[170:171], v[64:65], s[22:23], v[56:57]
	v_fma_f64 v[56:57], v[64:65], s[34:35], v[56:57]
	v_add_f64 v[216:217], v[2:3], v[216:217]
	v_add_f64 v[218:219], v[0:1], v[218:219]
	v_add_f64 v[162:163], v[0:1], v[162:163]
	v_mul_f64 v[132:133], v[132:133], s[42:43]
	v_fma_f64 v[176:177], v[86:87], s[38:39], -v[176:177]
	v_add_f64 v[154:155], v[154:155], v[168:169]
	v_fma_f64 v[168:169], v[66:67], s[20:21], v[190:191]
	v_add_f64 v[148:149], v[148:149], v[164:165]
	v_fma_f64 v[164:165], v[64:65], s[30:31], v[152:153]
	v_add_f64 v[160:161], v[2:3], v[160:161]
	v_mul_f64 v[58:59], v[94:95], s[4:5]
	v_mul_f64 v[198:199], v[92:93], s[18:19]
	;; [unrolled: 1-line block ×5, first 2 shown]
	v_fma_f64 v[184:185], v[66:67], s[28:29], -v[184:185]
	v_fma_f64 v[234:235], v[86:87], s[28:29], v[196:197]
	v_fma_f64 v[238:239], v[76:77], s[10:11], v[222:223]
	v_add_f64 v[34:35], v[38:39], v[34:35]
	v_add_f64 v[32:33], v[36:37], v[32:33]
	v_add_f64 v[36:37], v[166:167], -v[150:151]
	v_add_f64 v[56:57], v[0:1], v[56:57]
	v_fma_f64 v[38:39], v[64:65], s[24:25], v[194:195]
	v_fma_f64 v[150:151], v[66:67], s[20:21], -v[190:191]
	v_fma_f64 v[166:167], v[64:65], s[18:19], v[194:195]
	v_fma_f64 v[64:65], v[64:65], s[42:43], v[152:153]
	;; [unrolled: 1-line block ×4, first 2 shown]
	v_add_f64 v[216:217], v[226:227], v[216:217]
	v_add_f64 v[218:219], v[228:229], v[218:219]
	v_fma_f64 v[226:227], v[74:75], s[40:41], v[188:189]
	v_fma_f64 v[188:189], v[74:75], s[4:5], v[188:189]
	v_add_f64 v[162:163], v[182:183], v[162:163]
	v_fma_f64 v[194:195], v[86:87], s[26:27], v[186:187]
	v_add_f64 v[228:229], v[2:3], v[230:231]
	v_fma_f64 v[174:175], v[82:83], s[28:29], -v[174:175]
	v_add_f64 v[160:161], v[176:177], v[160:161]
	v_fma_f64 v[176:177], v[60:61], s[34:35], v[200:201]
	v_add_f64 v[170:171], v[0:1], v[170:171]
	v_add_f64 v[168:169], v[2:3], v[168:169]
	;; [unrolled: 1-line block ×4, first 2 shown]
	v_fma_f64 v[32:33], v[74:75], s[34:35], v[180:181]
	v_add_f64 v[56:57], v[192:193], v[56:57]
	v_fma_f64 v[34:35], v[68:69], s[4:5], v[178:179]
	v_fma_f64 v[178:179], v[68:69], s[40:41], v[178:179]
	v_add_f64 v[38:39], v[0:1], v[38:39]
	v_mul_f64 v[224:225], v[90:91], s[0:1]
	v_fma_f64 v[180:181], v[82:83], s[10:11], v[58:59]
	v_mul_f64 v[54:55], v[90:91], s[6:7]
	v_add_f64 v[152:153], v[152:153], v[216:217]
	v_add_f64 v[182:183], v[190:191], v[218:219]
	v_fma_f64 v[190:191], v[68:69], s[0:1], v[204:205]
	v_fma_f64 v[186:187], v[86:87], s[26:27], -v[186:187]
	v_add_f64 v[184:185], v[2:3], v[184:185]
	v_fma_f64 v[230:231], v[78:79], s[20:21], v[198:199]
	v_add_f64 v[194:195], v[194:195], v[228:229]
	v_fma_f64 v[236:237], v[70:71], s[24:25], v[202:203]
	;; [unrolled: 2-line block ×3, first 2 shown]
	v_add_f64 v[170:171], v[232:233], v[170:171]
	v_add_f64 v[154:155], v[0:1], v[154:155]
	;; [unrolled: 1-line block ×4, first 2 shown]
	v_fma_f64 v[50:51], v[68:69], s[14:15], v[204:205]
	v_fma_f64 v[204:205], v[66:67], s[38:39], v[132:133]
	v_fma_f64 v[66:67], v[66:67], s[38:39], -v[132:133]
	v_add_f64 v[32:33], v[32:33], v[162:163]
	v_add_f64 v[56:57], v[188:189], v[56:57]
	v_fma_f64 v[48:49], v[78:79], s[20:21], -v[198:199]
	v_fma_f64 v[198:199], v[70:71], s[18:19], v[202:203]
	v_fma_f64 v[202:203], v[76:77], s[10:11], -v[222:223]
	v_add_f64 v[152:153], v[238:239], v[152:153]
	v_add_f64 v[36:37], v[2:3], v[36:37]
	;; [unrolled: 1-line block ×5, first 2 shown]
	v_fma_f64 v[176:177], v[70:71], s[30:31], v[212:213]
	v_mul_f64 v[206:207], v[92:93], s[30:31]
	v_fma_f64 v[132:133], v[76:77], s[16:17], v[224:225]
	v_mul_f64 v[172:173], v[120:121], s[20:21]
	v_mul_f64 v[214:215], v[86:87], s[20:21]
	;; [unrolled: 1-line block ×3, first 2 shown]
	v_fma_f64 v[58:59], v[82:83], s[10:11], -v[58:59]
	v_add_f64 v[30:31], v[42:43], v[30:31]
	v_add_f64 v[28:29], v[40:41], v[28:29]
	;; [unrolled: 1-line block ×11, first 2 shown]
	v_mul_f64 v[178:179], v[98:99], s[36:37]
	v_add_f64 v[156:157], v[180:181], v[194:195]
	v_fma_f64 v[196:197], v[86:87], s[28:29], -v[196:197]
	v_add_f64 v[184:185], v[186:187], v[184:185]
	v_add_f64 v[160:161], v[202:203], v[160:161]
	;; [unrolled: 1-line block ×4, first 2 shown]
	v_mul_f64 v[166:167], v[120:121], s[16:17]
	v_mul_f64 v[180:181], v[114:115], s[20:21]
	;; [unrolled: 1-line block ×5, first 2 shown]
	v_fma_f64 v[186:187], v[76:77], s[16:17], -v[224:225]
	v_add_f64 v[30:31], v[46:47], v[30:31]
	v_fma_f64 v[46:47], v[82:83], s[38:39], -v[208:209]
	v_mul_f64 v[168:169], v[114:115], s[16:17]
	v_add_f64 v[52:53], v[52:53], -v[142:143]
	v_mul_f64 v[142:143], v[82:83], s[16:17]
	v_add_f64 v[116:117], v[214:215], -v[116:117]
	v_add_f64 v[2:3], v[174:175], v[2:3]
	v_fma_f64 v[174:175], v[76:77], s[26:27], v[54:55]
	v_add_f64 v[56:57], v[176:177], v[56:57]
	v_fma_f64 v[176:177], v[80:81], s[26:27], v[178:179]
	v_add_f64 v[132:133], v[132:133], v[156:157]
	v_fma_f64 v[156:157], v[78:79], s[38:39], v[206:207]
	v_add_f64 v[58:59], v[58:59], v[184:185]
	v_add_f64 v[40:41], v[196:197], v[40:41]
	;; [unrolled: 1-line block ×3, first 2 shown]
	v_fma_f64 v[160:161], v[70:71], s[42:43], v[212:213]
	v_add_f64 v[50:51], v[50:51], v[162:163]
	v_mul_f64 v[162:163], v[82:83], s[20:21]
	v_add_f64 v[138:139], v[138:139], v[180:181]
	v_mul_f64 v[94:95], v[94:95], s[6:7]
	v_fma_f64 v[180:181], v[86:87], s[10:11], -v[62:63]
	v_mul_f64 v[114:115], v[114:115], s[26:27]
	v_add_f64 v[88:89], v[88:89], v[172:173]
	v_add_f64 v[136:137], v[136:137], v[166:167]
	v_fma_f64 v[62:63], v[86:87], s[10:11], v[62:63]
	v_add_f64 v[28:29], v[44:45], v[28:29]
	v_mul_f64 v[220:221], v[118:119], s[26:27]
	v_add_f64 v[34:35], v[34:35], v[182:183]
	v_fma_f64 v[44:45], v[74:75], s[42:43], v[210:211]
	v_add_f64 v[174:175], v[174:175], v[2:3]
	v_fma_f64 v[170:171], v[78:79], s[38:39], -v[206:207]
	v_add_f64 v[2:3], v[176:177], v[152:153]
	v_fma_f64 v[152:153], v[60:61], s[4:5], v[120:121]
	v_add_f64 v[132:133], v[156:157], v[132:133]
	v_fma_f64 v[156:157], v[60:61], s[22:23], v[200:201]
	v_fma_f64 v[60:61], v[60:61], s[40:41], v[120:121]
	v_add_f64 v[58:59], v[186:187], v[58:59]
	v_add_f64 v[40:41], v[46:47], v[40:41]
	v_mul_f64 v[46:47], v[118:119], s[28:29]
	v_mul_f64 v[182:183], v[76:77], s[28:29]
	v_add_f64 v[50:51], v[160:161], v[50:51]
	v_mul_f64 v[160:161], v[76:77], s[38:39]
	v_add_f64 v[144:145], v[162:163], -v[144:145]
	v_mul_f64 v[162:163], v[118:119], s[38:39]
	v_add_f64 v[52:53], v[52:53], v[150:151]
	v_add_f64 v[124:125], v[142:143], -v[124:125]
	v_add_f64 v[36:37], v[116:117], v[36:37]
	v_add_f64 v[102:103], v[102:103], v[168:169]
	v_mul_f64 v[90:91], v[90:91], s[18:19]
	v_fma_f64 v[168:169], v[82:83], s[26:27], -v[94:95]
	v_add_f64 v[66:67], v[180:181], v[66:67]
	v_mul_f64 v[118:119], v[118:119], s[20:21]
	v_add_f64 v[88:89], v[88:89], v[148:149]
	v_add_f64 v[136:137], v[136:137], v[154:155]
	;; [unrolled: 1-line block ×3, first 2 shown]
	v_fma_f64 v[152:153], v[74:75], s[6:7], v[114:115]
	v_add_f64 v[42:43], v[156:157], v[42:43]
	v_mul_f64 v[186:187], v[98:99], s[18:19]
	v_fma_f64 v[180:181], v[74:75], s[30:31], v[210:211]
	v_fma_f64 v[82:83], v[82:83], s[26:27], v[94:95]
	v_add_f64 v[62:63], v[62:63], v[64:65]
	v_fma_f64 v[74:75], v[74:75], s[36:37], v[114:115]
	v_add_f64 v[60:61], v[60:61], v[164:165]
	v_add_f64 v[22:23], v[22:23], v[30:31]
	;; [unrolled: 1-line block ×4, first 2 shown]
	v_fma_f64 v[44:45], v[68:69], s[36:37], v[220:221]
	v_mul_f64 v[150:151], v[126:127], s[26:27]
	v_add_f64 v[58:59], v[170:171], v[58:59]
	v_mul_f64 v[170:171], v[78:79], s[26:27]
	v_mul_f64 v[184:185], v[78:79], s[10:11]
	v_add_f64 v[146:147], v[160:161], -v[146:147]
	v_add_f64 v[52:53], v[144:145], v[52:53]
	v_mul_f64 v[154:155], v[92:93], s[0:1]
	v_add_f64 v[106:107], v[182:183], -v[106:107]
	v_add_f64 v[36:37], v[124:125], v[36:37]
	v_add_f64 v[46:47], v[96:97], v[46:47]
	v_mul_f64 v[92:93], v[92:93], s[34:35]
	v_mul_f64 v[96:97], v[126:127], s[28:29]
	v_fma_f64 v[114:115], v[76:77], s[20:21], -v[90:91]
	v_add_f64 v[66:67], v[168:169], v[66:67]
	v_fma_f64 v[124:125], v[68:69], s[18:19], v[118:119]
	v_add_f64 v[0:1], v[152:153], v[0:1]
	v_fma_f64 v[54:55], v[76:77], s[26:27], -v[54:55]
	v_add_f64 v[28:29], v[102:103], v[88:89]
	v_mul_f64 v[166:167], v[126:127], s[10:11]
	v_add_f64 v[140:141], v[140:141], v[162:163]
	v_add_f64 v[30:31], v[138:139], v[136:137]
	v_mul_f64 v[86:87], v[126:127], s[16:17]
	v_fma_f64 v[116:117], v[80:81], s[20:21], v[186:187]
	v_fma_f64 v[176:177], v[80:81], s[20:21], -v[186:187]
	v_fma_f64 v[186:187], v[68:69], s[6:7], v[220:221]
	v_add_f64 v[42:43], v[180:181], v[42:43]
	v_fma_f64 v[76:77], v[76:77], s[20:21], v[90:91]
	v_add_f64 v[62:63], v[82:83], v[62:63]
	;; [unrolled: 2-line block ×3, first 2 shown]
	v_add_f64 v[18:19], v[18:19], v[22:23]
	v_add_f64 v[16:17], v[16:17], v[20:21]
	;; [unrolled: 1-line block ×3, first 2 shown]
	v_mul_f64 v[44:45], v[128:129], s[26:27]
	v_mul_f64 v[156:157], v[80:81], s[38:39]
	v_fma_f64 v[172:173], v[80:81], s[26:27], -v[178:179]
	v_mul_f64 v[178:179], v[98:99], s[40:41]
	v_add_f64 v[88:89], v[184:185], -v[134:135]
	v_add_f64 v[52:53], v[146:147], v[52:53]
	v_add_f64 v[74:75], v[170:171], -v[110:111]
	v_add_f64 v[36:37], v[106:107], v[36:37]
	v_add_f64 v[82:83], v[104:105], v[150:151]
	v_mul_f64 v[90:91], v[98:99], s[14:15]
	v_mul_f64 v[98:99], v[128:129], s[16:17]
	v_fma_f64 v[104:105], v[78:79], s[28:29], -v[92:93]
	v_add_f64 v[66:67], v[114:115], v[66:67]
	v_fma_f64 v[106:107], v[70:71], s[34:35], v[96:97]
	v_add_f64 v[0:1], v[124:125], v[0:1]
	v_add_f64 v[40:41], v[54:55], v[40:41]
	v_mul_f64 v[54:55], v[128:129], s[38:39]
	v_add_f64 v[20:21], v[46:47], v[28:29]
	v_mul_f64 v[144:145], v[128:129], s[28:29]
	v_mul_f64 v[162:163], v[80:81], s[28:29]
	v_fma_f64 v[148:149], v[78:79], s[16:17], v[154:155]
	v_fma_f64 v[154:155], v[78:79], s[16:17], -v[154:155]
	v_add_f64 v[102:103], v[122:123], v[166:167]
	v_add_f64 v[22:23], v[140:141], v[30:31]
	v_mul_f64 v[94:95], v[128:129], s[10:11]
	v_fma_f64 v[64:65], v[70:71], s[14:15], v[86:87]
	v_fma_f64 v[86:87], v[70:71], s[0:1], v[86:87]
	v_add_f64 v[28:29], v[186:187], v[42:43]
	v_mul_f64 v[160:161], v[128:129], s[20:21]
	v_fma_f64 v[78:79], v[78:79], s[28:29], v[92:93]
	v_add_f64 v[62:63], v[76:77], v[62:63]
	v_fma_f64 v[70:71], v[70:71], s[22:23], v[96:97]
	v_add_f64 v[60:61], v[68:69], v[60:61]
	v_add_f64 v[92:93], v[14:15], v[18:19]
	;; [unrolled: 1-line block ×4, first 2 shown]
	v_fma_f64 v[142:143], v[72:73], s[6:7], v[44:45]
	v_add_f64 v[52:53], v[88:89], v[52:53]
	v_add_f64 v[76:77], v[156:157], -v[108:109]
	v_add_f64 v[36:37], v[74:75], v[36:37]
	v_fma_f64 v[74:75], v[80:81], s[16:17], -v[90:91]
	v_add_f64 v[66:67], v[104:105], v[66:67]
	v_fma_f64 v[88:89], v[72:73], s[14:15], v[98:99]
	v_add_f64 v[96:97], v[106:107], v[0:1]
	v_add_f64 v[32:33], v[198:199], v[32:33]
	v_fma_f64 v[44:45], v[72:73], s[36:37], v[44:45]
	v_add_f64 v[54:55], v[100:101], v[54:55]
	v_add_f64 v[20:21], v[82:83], v[20:21]
	v_fma_f64 v[30:31], v[80:81], s[10:11], -v[178:179]
	v_add_f64 v[40:41], v[154:155], v[40:41]
	v_add_f64 v[46:47], v[162:163], -v[130:131]
	v_add_f64 v[68:69], v[112:113], v[144:145]
	v_add_f64 v[82:83], v[102:103], v[22:23]
	v_fma_f64 v[42:43], v[72:73], s[40:41], v[94:95]
	v_add_f64 v[86:87], v[86:87], v[28:29]
	v_fma_f64 v[120:121], v[72:73], s[24:25], v[160:161]
	v_fma_f64 v[160:161], v[72:73], s[18:19], v[160:161]
	;; [unrolled: 1-line block ×3, first 2 shown]
	v_add_f64 v[102:103], v[148:149], v[174:175]
	v_fma_f64 v[94:95], v[72:73], s[4:5], v[94:95]
	v_add_f64 v[64:65], v[64:65], v[38:39]
	v_fma_f64 v[80:81], v[80:81], s[16:17], v[90:91]
	;; [unrolled: 2-line block ×3, first 2 shown]
	v_add_f64 v[60:61], v[70:71], v[60:61]
	v_add_f64 v[10:11], v[10:11], v[92:93]
	;; [unrolled: 1-line block ×21, first 2 shown]
	v_mad_u32_u24 v52, 0xd0, v159, 0
	v_add_f64 v[48:49], v[72:73], v[60:61]
	ds_write_b128 v52, v[8:11]
	ds_write_b128 v52, v[36:39] offset:16
	ds_write_b128 v52, v[32:35] offset:32
	;; [unrolled: 1-line block ×12, first 2 shown]
.LBB0_15:
	s_or_b32 exec_lo, exec_lo, s33
	v_lshl_add_u32 v80, v159, 4, 0
	s_waitcnt lgkmcnt(0)
	s_barrier
	buffer_gl0_inv
	v_cmp_gt_u32_e64 s0, 0x4e, v159
	ds_read_b128 v[0:3], v80
	ds_read_b128 v[16:19], v80 offset:2496
	ds_read_b128 v[8:11], v80 offset:16224
	;; [unrolled: 1-line block ×9, first 2 shown]
	s_and_saveexec_b32 s1, s0
	s_cbranch_execz .LBB0_17
; %bb.16:
	ds_read_b128 v[4:7], v80 offset:12480
	ds_read_b128 v[24:27], v80 offset:26208
.LBB0_17:
	s_or_b32 exec_lo, exec_lo, s1
	v_and_b32_e32 v49, 0xff, v159
	v_add_nc_u32_e32 v48, 0x9c, v159
	v_mov_b32_e32 v51, 0x4ec5
	v_add_nc_u32_e32 v52, 0x138, v159
	v_add_nc_u32_e32 v53, 0x1d4, v159
	v_mul_lo_u16 v49, 0x4f, v49
	v_add_nc_u32_e32 v54, 0x270, v159
	v_mul_u32_u24_sdwa v56, v48, v51 dst_sel:DWORD dst_unused:UNUSED_PAD src0_sel:WORD_0 src1_sel:DWORD
	v_mul_u32_u24_sdwa v57, v52, v51 dst_sel:DWORD dst_unused:UNUSED_PAD src0_sel:WORD_0 src1_sel:DWORD
	v_add_nc_u32_e32 v55, 0x30c, v159
	v_lshrrev_b16 v79, 10, v49
	v_mul_u32_u24_sdwa v58, v53, v51 dst_sel:DWORD dst_unused:UNUSED_PAD src0_sel:WORD_0 src1_sel:DWORD
	v_lshrrev_b32_e32 v83, 18, v56
	v_mul_u32_u24_sdwa v59, v54, v51 dst_sel:DWORD dst_unused:UNUSED_PAD src0_sel:WORD_0 src1_sel:DWORD
	v_lshrrev_b32_e32 v94, 18, v57
	v_mul_lo_u16 v56, v79, 13
	v_mul_u32_u24_sdwa v51, v55, v51 dst_sel:DWORD dst_unused:UNUSED_PAD src0_sel:WORD_0 src1_sel:DWORD
	v_mov_b32_e32 v50, 4
	v_lshrrev_b32_e32 v95, 18, v58
	v_mul_lo_u16 v57, v83, 13
	v_sub_nc_u16 v56, v159, v56
	v_lshrrev_b32_e32 v96, 18, v59
	v_mul_lo_u16 v58, v94, 13
	v_lshrrev_b32_e32 v51, 18, v51
	v_sub_nc_u16 v57, v48, v57
	v_lshlrev_b32_sdwa v97, v50, v56 dst_sel:DWORD dst_unused:UNUSED_PAD src0_sel:DWORD src1_sel:BYTE_0
	v_mul_lo_u16 v56, v95, 13
	v_sub_nc_u16 v52, v52, v58
	v_mul_lo_u16 v58, v96, 13
	v_mul_lo_u16 v59, v51, 13
	v_lshlrev_b32_sdwa v98, v50, v57 dst_sel:DWORD dst_unused:UNUSED_PAD src0_sel:DWORD src1_sel:WORD_0
	v_sub_nc_u16 v57, v53, v56
	v_lshlrev_b32_sdwa v99, v50, v52 dst_sel:DWORD dst_unused:UNUSED_PAD src0_sel:DWORD src1_sel:WORD_0
	v_sub_nc_u16 v52, v54, v58
	v_sub_nc_u16 v65, v55, v59
	global_load_dwordx4 v[53:56], v97, s[8:9]
	v_lshlrev_b32_sdwa v100, v50, v57 dst_sel:DWORD dst_unused:UNUSED_PAD src0_sel:DWORD src1_sel:WORD_0
	global_load_dwordx4 v[57:60], v98, s[8:9]
	v_lshlrev_b32_sdwa v101, v50, v52 dst_sel:DWORD dst_unused:UNUSED_PAD src0_sel:DWORD src1_sel:WORD_0
	v_lshlrev_b32_sdwa v52, v50, v65 dst_sel:DWORD dst_unused:UNUSED_PAD src0_sel:DWORD src1_sel:WORD_0
	s_clause 0x3
	global_load_dwordx4 v[61:64], v99, s[8:9]
	global_load_dwordx4 v[65:68], v100, s[8:9]
	;; [unrolled: 1-line block ×4, first 2 shown]
	s_waitcnt vmcnt(0) lgkmcnt(0)
	s_barrier
	buffer_gl0_inv
	v_mul_f64 v[77:78], v[46:47], v[55:56]
	v_mul_f64 v[55:56], v[44:45], v[55:56]
	;; [unrolled: 1-line block ×12, first 2 shown]
	v_fma_f64 v[44:45], v[44:45], v[53:54], v[77:78]
	v_fma_f64 v[46:47], v[46:47], v[53:54], -v[55:56]
	v_fma_f64 v[8:9], v[8:9], v[57:58], v[81:82]
	v_fma_f64 v[10:11], v[10:11], v[57:58], -v[59:60]
	;; [unrolled: 2-line block ×6, first 2 shown]
	v_mul_u32_u24_e32 v62, 0x1a0, v83
	v_add_f64 v[24:25], v[0:1], -v[44:45]
	v_add_f64 v[26:27], v[2:3], -v[46:47]
	;; [unrolled: 1-line block ×12, first 2 shown]
	v_mov_b32_e32 v53, 0x1a0
	v_mul_u32_u24_sdwa v61, v79, v53 dst_sel:DWORD dst_unused:UNUSED_PAD src0_sel:WORD_0 src1_sel:DWORD
	v_fma_f64 v[53:54], v[0:1], 2.0, -v[24:25]
	v_fma_f64 v[55:56], v[2:3], 2.0, -v[26:27]
	v_fma_f64 v[57:58], v[16:17], 2.0, -v[40:41]
	v_fma_f64 v[59:60], v[18:19], 2.0, -v[42:43]
	v_fma_f64 v[32:33], v[32:33], 2.0, -v[44:45]
	v_fma_f64 v[34:35], v[34:35], 2.0, -v[46:47]
	v_fma_f64 v[0:1], v[28:29], 2.0, -v[8:9]
	v_fma_f64 v[2:3], v[30:31], 2.0, -v[10:11]
	v_fma_f64 v[16:17], v[36:37], 2.0, -v[12:13]
	v_fma_f64 v[18:19], v[38:39], 2.0, -v[14:15]
	v_fma_f64 v[4:5], v[4:5], 2.0, -v[20:21]
	v_fma_f64 v[6:7], v[6:7], 2.0, -v[22:23]
	v_mul_u32_u24_e32 v28, 0x1a0, v94
	v_mul_u32_u24_e32 v29, 0x1a0, v95
	;; [unrolled: 1-line block ×3, first 2 shown]
	v_add3_u32 v31, 0, v61, v97
	v_add3_u32 v36, 0, v62, v98
	;; [unrolled: 1-line block ×5, first 2 shown]
	ds_write_b128 v31, v[24:27] offset:208
	ds_write_b128 v31, v[53:56]
	ds_write_b128 v36, v[57:60]
	ds_write_b128 v36, v[40:43] offset:208
	ds_write_b128 v28, v[32:35]
	ds_write_b128 v28, v[44:47] offset:208
	;; [unrolled: 2-line block ×4, first 2 shown]
	s_and_saveexec_b32 s1, s0
	s_cbranch_execz .LBB0_19
; %bb.18:
	v_mul_lo_u16 v24, v51, 26
	v_lshlrev_b32_sdwa v24, v50, v24 dst_sel:DWORD dst_unused:UNUSED_PAD src0_sel:DWORD src1_sel:WORD_0
	v_add3_u32 v24, 0, v52, v24
	ds_write_b128 v24, v[4:7]
	ds_write_b128 v24, v[20:23] offset:208
.LBB0_19:
	s_or_b32 exec_lo, exec_lo, s1
	s_waitcnt lgkmcnt(0)
	s_barrier
	buffer_gl0_inv
	ds_read_b128 v[24:27], v80
	ds_read_b128 v[28:31], v80 offset:4576
	ds_read_b128 v[32:35], v80 offset:9152
	;; [unrolled: 1-line block ×5, first 2 shown]
	v_cmp_gt_u32_e64 s0, 0x82, v159
	s_and_saveexec_b32 s1, s0
	s_cbranch_execz .LBB0_21
; %bb.20:
	ds_read_b128 v[0:3], v80 offset:2496
	ds_read_b128 v[8:11], v80 offset:7072
	;; [unrolled: 1-line block ×6, first 2 shown]
.LBB0_21:
	s_or_b32 exec_lo, exec_lo, s1
	v_lshrrev_b16 v76, 11, v49
	v_mov_b32_e32 v49, 5
	s_mov_b32 s4, 0xe8584caa
	s_mov_b32 s5, 0xbfebb67a
	;; [unrolled: 1-line block ×3, first 2 shown]
	v_mul_lo_u16 v50, v76, 26
	s_mov_b32 s6, s4
	v_sub_nc_u16 v77, v159, v50
	v_mul_u32_u24_sdwa v50, v77, v49 dst_sel:DWORD dst_unused:UNUSED_PAD src0_sel:BYTE_0 src1_sel:DWORD
	v_lshlrev_b32_e32 v66, 4, v50
	s_clause 0x4
	global_load_dwordx4 v[50:53], v66, s[8:9] offset:240
	global_load_dwordx4 v[54:57], v66, s[8:9] offset:272
	;; [unrolled: 1-line block ×5, first 2 shown]
	s_waitcnt vmcnt(0) lgkmcnt(0)
	s_barrier
	buffer_gl0_inv
	v_mul_f64 v[70:71], v[40:41], v[52:53]
	v_mul_f64 v[72:73], v[44:45], v[56:57]
	;; [unrolled: 1-line block ×6, first 2 shown]
	v_fma_f64 v[42:43], v[42:43], v[50:51], -v[70:71]
	v_fma_f64 v[46:47], v[46:47], v[54:55], -v[72:73]
	v_mul_f64 v[70:71], v[34:35], v[64:65]
	v_mul_f64 v[64:65], v[32:33], v[64:65]
	;; [unrolled: 1-line block ×4, first 2 shown]
	v_fma_f64 v[40:41], v[40:41], v[50:51], v[52:53]
	v_fma_f64 v[44:45], v[44:45], v[54:55], v[56:57]
	v_fma_f64 v[30:31], v[30:31], v[58:59], -v[74:75]
	v_fma_f64 v[28:29], v[28:29], v[58:59], v[60:61]
	v_add_f64 v[50:51], v[42:43], v[46:47]
	v_fma_f64 v[32:33], v[32:33], v[62:63], v[70:71]
	v_fma_f64 v[34:35], v[34:35], v[62:63], -v[64:65]
	v_fma_f64 v[36:37], v[36:37], v[66:67], v[72:73]
	v_fma_f64 v[38:39], v[38:39], v[66:67], -v[68:69]
	v_add_f64 v[60:61], v[42:43], -v[46:47]
	v_add_f64 v[52:53], v[40:41], v[44:45]
	v_add_f64 v[54:55], v[40:41], -v[44:45]
	v_fma_f64 v[50:51], v[50:51], -0.5, v[30:31]
	v_add_f64 v[30:31], v[30:31], v[42:43]
	v_add_f64 v[56:57], v[32:33], v[36:37]
	;; [unrolled: 1-line block ×3, first 2 shown]
	v_add_f64 v[64:65], v[34:35], -v[38:39]
	v_fma_f64 v[52:53], v[52:53], -0.5, v[28:29]
	v_add_f64 v[34:35], v[26:27], v[34:35]
	v_add_f64 v[28:29], v[28:29], v[40:41]
	v_fma_f64 v[62:63], v[54:55], s[6:7], v[50:51]
	v_fma_f64 v[50:51], v[54:55], s[4:5], v[50:51]
	v_add_f64 v[54:55], v[24:25], v[32:33]
	v_add_f64 v[32:33], v[32:33], -v[36:37]
	v_fma_f64 v[24:25], v[56:57], -0.5, v[24:25]
	v_fma_f64 v[26:27], v[58:59], -0.5, v[26:27]
	v_fma_f64 v[40:41], v[60:61], s[4:5], v[52:53]
	v_fma_f64 v[42:43], v[60:61], s[6:7], v[52:53]
	v_add_f64 v[34:35], v[34:35], v[38:39]
	v_add_f64 v[38:39], v[28:29], v[44:45]
	;; [unrolled: 1-line block ×3, first 2 shown]
	v_mul_f64 v[52:53], v[62:63], s[4:5]
	v_mul_f64 v[58:59], v[62:63], 0.5
	v_mul_f64 v[56:57], v[50:51], s[4:5]
	v_mul_f64 v[50:51], v[50:51], -0.5
	v_add_f64 v[36:37], v[54:55], v[36:37]
	v_fma_f64 v[46:47], v[64:65], s[4:5], v[24:25]
	v_fma_f64 v[60:61], v[32:33], s[6:7], v[26:27]
	;; [unrolled: 1-line block ×4, first 2 shown]
	v_mov_b32_e32 v24, 4
	v_add_f64 v[27:28], v[34:35], v[44:45]
	v_add_f64 v[31:32], v[34:35], -v[44:45]
	v_mov_b32_e32 v45, 0x9c0
	v_mul_u32_u24_sdwa v45, v76, v45 dst_sel:DWORD dst_unused:UNUSED_PAD src0_sel:WORD_0 src1_sel:DWORD
	v_fma_f64 v[52:53], v[40:41], 0.5, v[52:53]
	v_fma_f64 v[58:59], v[40:41], s[6:7], v[58:59]
	v_fma_f64 v[56:57], v[42:43], -0.5, v[56:57]
	v_fma_f64 v[64:65], v[42:43], s[6:7], v[50:51]
	v_add_f64 v[25:26], v[36:37], v[38:39]
	v_add_f64 v[29:30], v[36:37], -v[38:39]
	v_add_f64 v[33:34], v[46:47], v[52:53]
	v_add_f64 v[35:36], v[60:61], v[58:59]
	;; [unrolled: 1-line block ×4, first 2 shown]
	v_add_f64 v[41:42], v[46:47], -v[52:53]
	v_add_f64 v[43:44], v[60:61], -v[58:59]
	;; [unrolled: 1-line block ×4, first 2 shown]
	v_lshlrev_b32_sdwa v46, v24, v77 dst_sel:DWORD dst_unused:UNUSED_PAD src0_sel:DWORD src1_sel:BYTE_0
	v_add3_u32 v45, 0, v45, v46
	ds_write_b128 v45, v[25:28]
	ds_write_b128 v45, v[29:32] offset:1248
	ds_write_b128 v45, v[33:36] offset:416
	;; [unrolled: 1-line block ×5, first 2 shown]
	s_and_saveexec_b32 s1, s0
	s_cbranch_execz .LBB0_23
; %bb.22:
	v_mov_b32_e32 v25, 0x4ec5
	v_mul_u32_u24_sdwa v25, v48, v25 dst_sel:DWORD dst_unused:UNUSED_PAD src0_sel:WORD_0 src1_sel:DWORD
	v_lshrrev_b32_e32 v51, 19, v25
	v_mul_lo_u16 v25, v51, 26
	v_sub_nc_u16 v52, v48, v25
	v_mul_u32_u24_sdwa v25, v52, v49 dst_sel:DWORD dst_unused:UNUSED_PAD src0_sel:WORD_0 src1_sel:DWORD
	v_lshlrev_b32_e32 v41, 4, v25
	s_clause 0x4
	global_load_dwordx4 v[25:28], v41, s[8:9] offset:240
	global_load_dwordx4 v[29:32], v41, s[8:9] offset:272
	global_load_dwordx4 v[33:36], v41, s[8:9] offset:208
	global_load_dwordx4 v[37:40], v41, s[8:9] offset:224
	global_load_dwordx4 v[41:44], v41, s[8:9] offset:256
	s_waitcnt vmcnt(4)
	v_mul_f64 v[45:46], v[12:13], v[27:28]
	s_waitcnt vmcnt(3)
	v_mul_f64 v[47:48], v[20:21], v[31:32]
	v_mul_f64 v[27:28], v[14:15], v[27:28]
	;; [unrolled: 1-line block ×3, first 2 shown]
	s_waitcnt vmcnt(2)
	v_mul_f64 v[49:50], v[8:9], v[35:36]
	v_mul_f64 v[35:36], v[10:11], v[35:36]
	v_fma_f64 v[14:15], v[14:15], v[25:26], -v[45:46]
	v_fma_f64 v[22:23], v[22:23], v[29:30], -v[47:48]
	s_waitcnt vmcnt(1)
	v_mul_f64 v[45:46], v[16:17], v[39:40]
	s_waitcnt vmcnt(0)
	v_mul_f64 v[47:48], v[4:5], v[43:44]
	v_fma_f64 v[12:13], v[12:13], v[25:26], v[27:28]
	v_fma_f64 v[20:21], v[20:21], v[29:30], v[31:32]
	v_fma_f64 v[10:11], v[10:11], v[33:34], -v[49:50]
	v_mul_f64 v[27:28], v[18:19], v[39:40]
	v_mul_f64 v[29:30], v[6:7], v[43:44]
	v_fma_f64 v[8:9], v[8:9], v[33:34], v[35:36]
	v_add_f64 v[25:26], v[14:15], v[22:23]
	v_fma_f64 v[18:19], v[18:19], v[37:38], -v[45:46]
	v_fma_f64 v[6:7], v[6:7], v[41:42], -v[47:48]
	v_add_f64 v[31:32], v[12:13], v[20:21]
	v_add_f64 v[33:34], v[12:13], -v[20:21]
	v_fma_f64 v[16:17], v[16:17], v[37:38], v[27:28]
	v_fma_f64 v[4:5], v[4:5], v[41:42], v[29:30]
	v_add_f64 v[29:30], v[14:15], -v[22:23]
	v_fma_f64 v[25:26], v[25:26], -0.5, v[10:11]
	v_add_f64 v[39:40], v[2:3], v[18:19]
	v_add_f64 v[27:28], v[18:19], v[6:7]
	;; [unrolled: 1-line block ×3, first 2 shown]
	v_fma_f64 v[31:32], v[31:32], -0.5, v[8:9]
	v_add_f64 v[8:9], v[8:9], v[12:13]
	v_add_f64 v[14:15], v[18:19], -v[6:7]
	v_add_f64 v[37:38], v[16:17], -v[4:5]
	v_fma_f64 v[35:36], v[33:34], s[4:5], v[25:26]
	v_fma_f64 v[25:26], v[33:34], s[6:7], v[25:26]
	v_add_f64 v[33:34], v[16:17], v[4:5]
	v_add_f64 v[16:17], v[0:1], v[16:17]
	v_fma_f64 v[2:3], v[27:28], -0.5, v[2:3]
	v_fma_f64 v[12:13], v[29:30], s[6:7], v[31:32]
	v_fma_f64 v[18:19], v[29:30], s[4:5], v[31:32]
	v_add_f64 v[6:7], v[39:40], v[6:7]
	v_add_f64 v[10:11], v[10:11], v[22:23]
	;; [unrolled: 1-line block ×3, first 2 shown]
	v_mul_f64 v[27:28], v[35:36], -0.5
	v_mul_f64 v[29:30], v[25:26], 0.5
	v_fma_f64 v[0:1], v[33:34], -0.5, v[0:1]
	v_mul_f64 v[25:26], v[25:26], s[4:5]
	v_mul_f64 v[31:32], v[35:36], s[4:5]
	v_add_f64 v[4:5], v[16:17], v[4:5]
	v_fma_f64 v[16:17], v[37:38], s[4:5], v[2:3]
	v_fma_f64 v[20:21], v[37:38], s[6:7], v[2:3]
	v_add_f64 v[2:3], v[6:7], -v[10:11]
	v_add_f64 v[6:7], v[6:7], v[10:11]
	v_fma_f64 v[22:23], v[12:13], s[6:7], v[27:28]
	v_fma_f64 v[27:28], v[18:19], s[6:7], v[29:30]
	;; [unrolled: 1-line block ×3, first 2 shown]
	v_fma_f64 v[25:26], v[18:19], 0.5, v[25:26]
	v_fma_f64 v[29:30], v[14:15], s[6:7], v[0:1]
	v_fma_f64 v[31:32], v[12:13], -0.5, v[31:32]
	v_add_f64 v[0:1], v[4:5], -v[8:9]
	v_add_f64 v[4:5], v[4:5], v[8:9]
	v_add_f64 v[10:11], v[16:17], -v[22:23]
	v_add_f64 v[14:15], v[20:21], -v[27:28]
	v_add_f64 v[18:19], v[16:17], v[22:23]
	v_add_f64 v[22:23], v[20:21], v[27:28]
	;; [unrolled: 1-line block ×4, first 2 shown]
	v_add_f64 v[12:13], v[33:34], -v[25:26]
	v_add_f64 v[8:9], v[29:30], -v[31:32]
	v_mul_lo_u16 v25, 0x9c, v51
	v_lshlrev_b32_sdwa v25, v24, v25 dst_sel:DWORD dst_unused:UNUSED_PAD src0_sel:DWORD src1_sel:WORD_0
	v_lshlrev_b32_sdwa v24, v24, v52 dst_sel:DWORD dst_unused:UNUSED_PAD src0_sel:DWORD src1_sel:WORD_0
	v_add3_u32 v24, 0, v24, v25
	ds_write_b128 v24, v[4:7]
	ds_write_b128 v24, v[0:3] offset:1248
	ds_write_b128 v24, v[20:23] offset:416
	;; [unrolled: 1-line block ×5, first 2 shown]
.LBB0_23:
	s_or_b32 exec_lo, exec_lo, s1
	s_waitcnt lgkmcnt(0)
	s_barrier
	buffer_gl0_inv
	s_and_saveexec_b32 s0, vcc_lo
	s_cbranch_execz .LBB0_25
; %bb.24:
	v_mul_u32_u24_e32 v0, 10, v159
	v_add_nc_u32_e32 v110, 0x9c, v158
	v_add_nc_u32_e32 v111, 0x138, v158
	v_add_nc_u32_e32 v112, 0x1d4, v158
	v_add_nc_u32_e32 v113, 0x270, v158
	v_lshlrev_b32_e32 v0, 4, v0
	v_add_nc_u32_e32 v114, 0x30c, v158
	v_mad_u64_u32 v[92:93], null, s2, v158, 0
	v_add_nc_u32_e32 v115, 0x3a8, v158
	v_add_co_u32 v12, s0, s8, v0
	v_add_co_ci_u32_e64 v13, null, s9, 0, s0
	v_mad_u64_u32 v[94:95], null, s2, v110, 0
	v_add_co_u32 v0, vcc_lo, 0x930, v12
	v_add_co_ci_u32_e32 v1, vcc_lo, 0, v13, vcc_lo
	v_add_co_u32 v2, vcc_lo, 0x800, v12
	v_add_co_ci_u32_e32 v3, vcc_lo, 0, v13, vcc_lo
	;; [unrolled: 2-line block ×3, first 2 shown]
	v_add_co_u32 v22, vcc_lo, 0x970, v12
	s_clause 0x3
	global_load_dwordx4 v[4:7], v[2:3], off offset:304
	global_load_dwordx4 v[8:11], v[0:1], off offset:16
	global_load_dwordx4 v[44:47], v[0:1], off offset:32
	global_load_dwordx4 v[52:55], v[20:21], off offset:48
	v_add_co_ci_u32_e32 v23, vcc_lo, 0, v13, vcc_lo
	s_clause 0x5
	global_load_dwordx4 v[16:19], v[20:21], off offset:32
	global_load_dwordx4 v[12:15], v[0:1], off offset:48
	;; [unrolled: 1-line block ×6, first 2 shown]
	v_add_nc_u32_e32 v116, 0x444, v158
	v_mad_u64_u32 v[96:97], null, s2, v111, 0
	v_mad_u64_u32 v[98:99], null, s2, v112, 0
	;; [unrolled: 1-line block ×6, first 2 shown]
	ds_read_b128 v[68:71], v80 offset:12480
	ds_read_b128 v[60:63], v80 offset:9984
	;; [unrolled: 1-line block ×8, first 2 shown]
	ds_read_b128 v[0:3], v80
	ds_read_b128 v[76:79], v80 offset:2496
	ds_read_b128 v[80:83], v80 offset:24960
	v_mad_u64_u32 v[108:109], null, s3, v158, v[93:94]
	v_mov_b32_e32 v93, v95
	v_mov_b32_e32 v95, v97
	;; [unrolled: 1-line block ×6, first 2 shown]
	v_mad_u64_u32 v[109:110], null, s3, v110, v[93:94]
	v_mov_b32_e32 v105, v107
	v_mad_u64_u32 v[110:111], null, s3, v111, v[95:96]
	v_mad_u64_u32 v[111:112], null, s3, v112, v[97:98]
	;; [unrolled: 1-line block ×6, first 2 shown]
	v_add_nc_u32_e32 v117, 0x4e0, v158
	v_add_nc_u32_e32 v118, 0x57c, v158
	v_mov_b32_e32 v93, v108
	v_mov_b32_e32 v95, v109
	;; [unrolled: 1-line block ×8, first 2 shown]
	v_lshlrev_b64 v[90:91], 4, v[84:85]
	v_add_nc_u32_e32 v119, 0x618, v158
	v_mad_u64_u32 v[88:89], null, s2, v117, 0
	v_mad_u64_u32 v[86:87], null, s2, v118, 0
	;; [unrolled: 1-line block ×3, first 2 shown]
	v_add_co_u32 v90, vcc_lo, s12, v90
	v_lshlrev_b64 v[92:93], 4, v[92:93]
	v_add_co_ci_u32_e32 v91, vcc_lo, s13, v91, vcc_lo
	v_mad_u64_u32 v[116:117], null, s3, v117, v[89:90]
	v_mad_u64_u32 v[117:118], null, s3, v118, v[87:88]
	;; [unrolled: 1-line block ×3, first 2 shown]
	v_lshlrev_b64 v[94:95], 4, v[94:95]
	v_lshlrev_b64 v[96:97], 4, v[96:97]
	v_mov_b32_e32 v89, v116
	v_add_co_u32 v92, vcc_lo, v90, v92
	v_mov_b32_e32 v87, v117
	v_mov_b32_e32 v85, v118
	v_add_co_ci_u32_e32 v93, vcc_lo, v91, v93, vcc_lo
	v_lshlrev_b64 v[98:99], 4, v[98:99]
	v_add_co_u32 v94, vcc_lo, v90, v94
	v_add_co_ci_u32_e32 v95, vcc_lo, v91, v95, vcc_lo
	v_lshlrev_b64 v[100:101], 4, v[100:101]
	v_add_co_u32 v96, vcc_lo, v90, v96
	;; [unrolled: 3-line block ×4, first 2 shown]
	v_add_co_ci_u32_e32 v101, vcc_lo, v91, v101, vcc_lo
	v_lshlrev_b64 v[106:107], 4, v[106:107]
	s_mov_b32 s20, 0xf8bb580b
	s_mov_b32 s17, 0x3fed1bb4
	;; [unrolled: 1-line block ×26, first 2 shown]
	v_lshlrev_b64 v[88:89], 4, v[88:89]
	v_lshlrev_b64 v[86:87], 4, v[86:87]
	;; [unrolled: 1-line block ×3, first 2 shown]
	s_waitcnt vmcnt(9) lgkmcnt(10)
	v_mul_f64 v[108:109], v[6:7], v[70:71]
	s_waitcnt vmcnt(8) lgkmcnt(8)
	v_mul_f64 v[110:111], v[10:11], v[74:75]
	v_mul_f64 v[6:7], v[68:69], v[6:7]
	;; [unrolled: 1-line block ×3, first 2 shown]
	s_waitcnt vmcnt(6)
	v_mul_f64 v[112:113], v[54:55], v[62:63]
	s_waitcnt lgkmcnt(7)
	v_mul_f64 v[114:115], v[46:47], v[66:67]
	v_mul_f64 v[54:55], v[60:61], v[54:55]
	;; [unrolled: 1-line block ×3, first 2 shown]
	s_waitcnt vmcnt(3) lgkmcnt(1)
	v_mul_f64 v[120:121], v[50:51], v[78:79]
	s_waitcnt vmcnt(2) lgkmcnt(0)
	v_mul_f64 v[122:123], v[58:59], v[82:83]
	v_mul_f64 v[50:51], v[76:77], v[50:51]
	;; [unrolled: 1-line block ×7, first 2 shown]
	s_waitcnt vmcnt(1)
	v_mul_f64 v[124:125], v[22:23], v[30:31]
	s_waitcnt vmcnt(0)
	v_mul_f64 v[126:127], v[26:27], v[42:43]
	v_mul_f64 v[22:23], v[28:29], v[22:23]
	;; [unrolled: 1-line block ×3, first 2 shown]
	v_fma_f64 v[68:69], v[4:5], v[68:69], v[108:109]
	v_fma_f64 v[72:73], v[8:9], v[72:73], v[110:111]
	v_fma_f64 v[4:5], v[4:5], v[70:71], -v[6:7]
	v_fma_f64 v[6:7], v[8:9], v[74:75], -v[10:11]
	v_fma_f64 v[8:9], v[52:53], v[60:61], v[112:113]
	v_fma_f64 v[10:11], v[44:45], v[64:65], v[114:115]
	v_fma_f64 v[52:53], v[52:53], v[62:63], -v[54:55]
	v_fma_f64 v[44:45], v[44:45], v[66:67], -v[46:47]
	;; [unrolled: 4-line block ×5, first 2 shown]
	v_add_co_u32 v56, vcc_lo, v90, v102
	v_add_co_ci_u32_e32 v57, vcc_lo, v91, v103, vcc_lo
	v_add_co_u32 v58, vcc_lo, v90, v104
	v_add_co_ci_u32_e32 v59, vcc_lo, v91, v105, vcc_lo
	v_add_f64 v[24:25], v[68:69], -v[72:73]
	v_add_f64 v[26:27], v[8:9], -v[10:11]
	;; [unrolled: 1-line block ×4, first 2 shown]
	v_add_f64 v[74:75], v[46:47], v[54:55]
	v_add_f64 v[40:41], v[48:49], -v[50:51]
	v_add_f64 v[70:71], v[48:49], v[50:51]
	v_add_f64 v[48:49], v[2:3], v[48:49]
	;; [unrolled: 1-line block ×3, first 2 shown]
	v_add_f64 v[28:29], v[32:33], -v[36:37]
	v_add_f64 v[38:39], v[52:53], -v[44:45]
	;; [unrolled: 1-line block ×3, first 2 shown]
	v_add_f64 v[104:105], v[14:15], v[18:19]
	v_add_f64 v[82:83], v[20:21], v[22:23]
	v_add_f64 v[102:103], v[20:21], -v[22:23]
	v_add_f64 v[64:65], v[16:17], v[12:13]
	v_add_f64 v[66:67], v[16:17], -v[12:13]
	v_add_co_u32 v60, vcc_lo, v90, v106
	v_add_f64 v[78:79], v[8:9], v[10:11]
	v_add_co_ci_u32_e32 v61, vcc_lo, v91, v107, vcc_lo
	v_mul_f64 v[122:123], v[24:25], s[16:17]
	v_mul_f64 v[110:111], v[26:27], s[16:17]
	;; [unrolled: 1-line block ×4, first 2 shown]
	v_add_f64 v[106:107], v[32:33], v[36:37]
	v_mul_f64 v[154:155], v[40:41], s[24:25]
	v_mul_f64 v[114:115], v[30:31], s[22:23]
	v_add_f64 v[20:21], v[20:21], v[48:49]
	v_add_f64 v[14:15], v[14:15], v[46:47]
	v_mul_f64 v[138:139], v[28:29], s[16:17]
	v_mul_f64 v[118:119], v[38:39], s[16:17]
	;; [unrolled: 1-line block ×8, first 2 shown]
	s_mov_b32 s17, 0xbfed1bb4
	v_mul_f64 v[178:179], v[66:67], s[18:19]
	v_mul_f64 v[180:181], v[66:67], s[24:25]
	;; [unrolled: 1-line block ×6, first 2 shown]
	v_add_f64 v[42:43], v[4:5], v[6:7]
	v_mul_f64 v[164:165], v[80:81], s[20:21]
	v_mul_f64 v[166:167], v[80:81], s[26:27]
	;; [unrolled: 1-line block ×4, first 2 shown]
	v_add_f64 v[16:17], v[16:17], v[20:21]
	v_add_f64 v[14:15], v[32:33], v[14:15]
	v_mul_f64 v[46:47], v[102:103], s[20:21]
	v_mul_f64 v[172:173], v[102:103], s[26:27]
	;; [unrolled: 1-line block ×6, first 2 shown]
	v_fma_f64 v[214:215], v[70:71], s[8:9], v[152:153]
	v_fma_f64 v[216:217], v[74:75], s[8:9], -v[154:155]
	v_fma_f64 v[152:153], v[70:71], s[8:9], -v[152:153]
	v_fma_f64 v[154:155], v[74:75], s[8:9], v[154:155]
	v_add_f64 v[62:63], v[52:53], v[44:45]
	v_add_f64 v[76:77], v[68:69], v[72:73]
	v_mul_f64 v[108:109], v[24:25], s[14:15]
	v_mul_f64 v[112:113], v[28:29], s[18:19]
	v_mul_f64 v[116:117], v[34:35], s[14:15]
	v_mul_f64 v[124:125], v[26:27], s[22:23]
	v_mul_f64 v[126:127], v[28:29], s[24:25]
	v_mul_f64 v[134:135], v[24:25], s[18:19]
	v_mul_f64 v[136:137], v[26:27], s[24:25]
	v_mul_f64 v[146:147], v[24:25], s[20:21]
	v_add_f64 v[16:17], v[52:53], v[16:17]
	v_add_f64 v[8:9], v[8:9], v[14:15]
	v_mul_f64 v[148:149], v[26:27], s[26:27]
	v_mul_f64 v[150:151], v[28:29], s[28:29]
	;; [unrolled: 1-line block ×12, first 2 shown]
	v_fma_f64 v[190:191], v[70:71], s[10:11], v[114:115]
	v_fma_f64 v[192:193], v[74:75], s[10:11], -v[120:121]
	v_fma_f64 v[114:115], v[70:71], s[10:11], -v[114:115]
	v_fma_f64 v[120:121], v[74:75], s[10:11], v[120:121]
	v_fma_f64 v[200:201], v[70:71], s[6:7], v[128:129]
	v_fma_f64 v[128:129], v[70:71], s[6:7], -v[128:129]
	v_fma_f64 v[210:211], v[70:71], s[4:5], v[140:141]
	v_fma_f64 v[140:141], v[70:71], s[4:5], -v[140:141]
	v_add_f64 v[4:5], v[4:5], v[16:17]
	v_add_f64 v[8:9], v[68:69], v[8:9]
	v_fma_f64 v[242:243], v[106:107], s[6:7], -v[178:179]
	v_fma_f64 v[178:179], v[106:107], s[6:7], v[178:179]
	v_fma_f64 v[244:245], v[106:107], s[8:9], -v[180:181]
	v_fma_f64 v[180:181], v[106:107], s[8:9], v[180:181]
	v_fma_f64 v[246:247], v[106:107], s[0:1], -v[142:143]
	v_fma_f64 v[142:143], v[106:107], s[0:1], v[142:143]
	v_fma_f64 v[248:249], v[106:107], s[10:11], -v[182:183]
	v_fma_f64 v[182:183], v[106:107], s[10:11], v[182:183]
	v_fma_f64 v[250:251], v[106:107], s[4:5], -v[66:67]
	v_fma_f64 v[66:67], v[106:107], s[4:5], v[66:67]
	v_fma_f64 v[106:107], v[70:71], s[0:1], v[30:31]
	v_fma_f64 v[30:31], v[70:71], s[0:1], -v[30:31]
	v_fma_f64 v[70:71], v[74:75], s[0:1], -v[40:41]
	v_fma_f64 v[40:41], v[74:75], s[0:1], v[40:41]
	v_fma_f64 v[202:203], v[74:75], s[6:7], -v[132:133]
	v_fma_f64 v[212:213], v[74:75], s[4:5], -v[144:145]
	v_fma_f64 v[144:145], v[74:75], s[4:5], v[144:145]
	v_fma_f64 v[132:133], v[74:75], s[6:7], v[132:133]
	;; [unrolled: 1-line block ×3, first 2 shown]
	v_fma_f64 v[80:81], v[82:83], s[0:1], -v[80:81]
	v_fma_f64 v[252:253], v[104:105], s[0:1], -v[102:103]
	v_fma_f64 v[102:103], v[104:105], s[0:1], v[102:103]
	v_add_f64 v[152:153], v[2:3], v[152:153]
	v_add_f64 v[154:155], v[0:1], v[154:155]
	;; [unrolled: 1-line block ×4, first 2 shown]
	v_fma_f64 v[184:185], v[42:43], s[4:5], v[108:109]
	v_fma_f64 v[186:187], v[62:63], s[0:1], v[110:111]
	v_fma_f64 v[188:189], v[64:65], s[6:7], v[112:113]
	v_fma_f64 v[108:109], v[42:43], s[4:5], -v[108:109]
	v_fma_f64 v[110:111], v[62:63], s[0:1], -v[110:111]
	v_fma_f64 v[112:113], v[64:65], s[6:7], -v[112:113]
	v_fma_f64 v[194:195], v[42:43], s[0:1], v[122:123]
	v_fma_f64 v[196:197], v[62:63], s[10:11], v[124:125]
	v_fma_f64 v[198:199], v[64:65], s[8:9], v[126:127]
	v_fma_f64 v[122:123], v[42:43], s[0:1], -v[122:123]
	v_fma_f64 v[124:125], v[62:63], s[10:11], -v[124:125]
	v_fma_f64 v[126:127], v[64:65], s[8:9], -v[126:127]
	;; [unrolled: 6-line block ×4, first 2 shown]
	v_fma_f64 v[224:225], v[42:43], s[10:11], v[24:25]
	v_fma_f64 v[24:25], v[42:43], s[10:11], -v[24:25]
	v_fma_f64 v[42:43], v[62:63], s[6:7], v[26:27]
	v_fma_f64 v[26:27], v[62:63], s[6:7], -v[26:27]
	;; [unrolled: 2-line block ×3, first 2 shown]
	v_fma_f64 v[64:65], v[76:77], s[4:5], -v[116:117]
	v_fma_f64 v[116:117], v[76:77], s[4:5], v[116:117]
	v_fma_f64 v[226:227], v[76:77], s[0:1], -v[130:131]
	v_fma_f64 v[130:131], v[76:77], s[0:1], v[130:131]
	;; [unrolled: 2-line block ×10, first 2 shown]
	v_fma_f64 v[78:79], v[82:83], s[8:9], v[164:165]
	v_fma_f64 v[164:165], v[82:83], s[8:9], -v[164:165]
	v_fma_f64 v[238:239], v[82:83], s[4:5], v[166:167]
	v_fma_f64 v[166:167], v[82:83], s[4:5], -v[166:167]
	;; [unrolled: 2-line block ×4, first 2 shown]
	v_fma_f64 v[14:15], v[104:105], s[8:9], -v[46:47]
	v_fma_f64 v[46:47], v[104:105], s[8:9], v[46:47]
	v_fma_f64 v[74:75], v[104:105], s[4:5], -v[172:173]
	v_fma_f64 v[172:173], v[104:105], s[4:5], v[172:173]
	;; [unrolled: 2-line block ×4, first 2 shown]
	v_add_f64 v[104:105], v[2:3], v[190:191]
	v_add_f64 v[190:191], v[0:1], v[192:193]
	;; [unrolled: 1-line block ×106, first 2 shown]
	v_add_co_u32 v44, vcc_lo, v90, v88
	v_add_co_ci_u32_e32 v45, vcc_lo, v91, v89, vcc_lo
	v_add_co_u32 v46, vcc_lo, v90, v86
	v_add_co_ci_u32_e32 v47, vcc_lo, v91, v87, vcc_lo
	;; [unrolled: 2-line block ×3, first 2 shown]
	global_store_dwordx4 v[92:93], v[24:27], off
	global_store_dwordx4 v[94:95], v[20:23], off
	;; [unrolled: 1-line block ×11, first 2 shown]
.LBB0_25:
	s_endpgm
	.section	.rodata,"a",@progbits
	.p2align	6, 0x0
	.amdhsa_kernel fft_rtc_back_len1716_factors_13_2_6_11_wgs_156_tpt_156_dp_ip_CI_sbrr_dirReg
		.amdhsa_group_segment_fixed_size 0
		.amdhsa_private_segment_fixed_size 0
		.amdhsa_kernarg_size 88
		.amdhsa_user_sgpr_count 6
		.amdhsa_user_sgpr_private_segment_buffer 1
		.amdhsa_user_sgpr_dispatch_ptr 0
		.amdhsa_user_sgpr_queue_ptr 0
		.amdhsa_user_sgpr_kernarg_segment_ptr 1
		.amdhsa_user_sgpr_dispatch_id 0
		.amdhsa_user_sgpr_flat_scratch_init 0
		.amdhsa_user_sgpr_private_segment_size 0
		.amdhsa_wavefront_size32 1
		.amdhsa_uses_dynamic_stack 0
		.amdhsa_system_sgpr_private_segment_wavefront_offset 0
		.amdhsa_system_sgpr_workgroup_id_x 1
		.amdhsa_system_sgpr_workgroup_id_y 0
		.amdhsa_system_sgpr_workgroup_id_z 0
		.amdhsa_system_sgpr_workgroup_info 0
		.amdhsa_system_vgpr_workitem_id 0
		.amdhsa_next_free_vgpr 254
		.amdhsa_next_free_sgpr 44
		.amdhsa_reserve_vcc 1
		.amdhsa_reserve_flat_scratch 0
		.amdhsa_float_round_mode_32 0
		.amdhsa_float_round_mode_16_64 0
		.amdhsa_float_denorm_mode_32 3
		.amdhsa_float_denorm_mode_16_64 3
		.amdhsa_dx10_clamp 1
		.amdhsa_ieee_mode 1
		.amdhsa_fp16_overflow 0
		.amdhsa_workgroup_processor_mode 1
		.amdhsa_memory_ordered 1
		.amdhsa_forward_progress 0
		.amdhsa_shared_vgpr_count 0
		.amdhsa_exception_fp_ieee_invalid_op 0
		.amdhsa_exception_fp_denorm_src 0
		.amdhsa_exception_fp_ieee_div_zero 0
		.amdhsa_exception_fp_ieee_overflow 0
		.amdhsa_exception_fp_ieee_underflow 0
		.amdhsa_exception_fp_ieee_inexact 0
		.amdhsa_exception_int_div_zero 0
	.end_amdhsa_kernel
	.text
.Lfunc_end0:
	.size	fft_rtc_back_len1716_factors_13_2_6_11_wgs_156_tpt_156_dp_ip_CI_sbrr_dirReg, .Lfunc_end0-fft_rtc_back_len1716_factors_13_2_6_11_wgs_156_tpt_156_dp_ip_CI_sbrr_dirReg
                                        ; -- End function
	.section	.AMDGPU.csdata,"",@progbits
; Kernel info:
; codeLenInByte = 12460
; NumSgprs: 46
; NumVgprs: 254
; ScratchSize: 0
; MemoryBound: 1
; FloatMode: 240
; IeeeMode: 1
; LDSByteSize: 0 bytes/workgroup (compile time only)
; SGPRBlocks: 5
; VGPRBlocks: 31
; NumSGPRsForWavesPerEU: 46
; NumVGPRsForWavesPerEU: 254
; Occupancy: 4
; WaveLimiterHint : 1
; COMPUTE_PGM_RSRC2:SCRATCH_EN: 0
; COMPUTE_PGM_RSRC2:USER_SGPR: 6
; COMPUTE_PGM_RSRC2:TRAP_HANDLER: 0
; COMPUTE_PGM_RSRC2:TGID_X_EN: 1
; COMPUTE_PGM_RSRC2:TGID_Y_EN: 0
; COMPUTE_PGM_RSRC2:TGID_Z_EN: 0
; COMPUTE_PGM_RSRC2:TIDIG_COMP_CNT: 0
	.text
	.p2alignl 6, 3214868480
	.fill 48, 4, 3214868480
	.type	__hip_cuid_e6ebae1c0948f6d8,@object ; @__hip_cuid_e6ebae1c0948f6d8
	.section	.bss,"aw",@nobits
	.globl	__hip_cuid_e6ebae1c0948f6d8
__hip_cuid_e6ebae1c0948f6d8:
	.byte	0                               ; 0x0
	.size	__hip_cuid_e6ebae1c0948f6d8, 1

	.ident	"AMD clang version 19.0.0git (https://github.com/RadeonOpenCompute/llvm-project roc-6.4.0 25133 c7fe45cf4b819c5991fe208aaa96edf142730f1d)"
	.section	".note.GNU-stack","",@progbits
	.addrsig
	.addrsig_sym __hip_cuid_e6ebae1c0948f6d8
	.amdgpu_metadata
---
amdhsa.kernels:
  - .args:
      - .actual_access:  read_only
        .address_space:  global
        .offset:         0
        .size:           8
        .value_kind:     global_buffer
      - .offset:         8
        .size:           8
        .value_kind:     by_value
      - .actual_access:  read_only
        .address_space:  global
        .offset:         16
        .size:           8
        .value_kind:     global_buffer
      - .actual_access:  read_only
        .address_space:  global
        .offset:         24
        .size:           8
        .value_kind:     global_buffer
      - .offset:         32
        .size:           8
        .value_kind:     by_value
      - .actual_access:  read_only
        .address_space:  global
        .offset:         40
        .size:           8
        .value_kind:     global_buffer
      - .actual_access:  read_only
        .address_space:  global
        .offset:         48
        .size:           8
        .value_kind:     global_buffer
      - .offset:         56
        .size:           4
        .value_kind:     by_value
      - .actual_access:  read_only
        .address_space:  global
        .offset:         64
        .size:           8
        .value_kind:     global_buffer
      - .actual_access:  read_only
        .address_space:  global
        .offset:         72
        .size:           8
        .value_kind:     global_buffer
      - .address_space:  global
        .offset:         80
        .size:           8
        .value_kind:     global_buffer
    .group_segment_fixed_size: 0
    .kernarg_segment_align: 8
    .kernarg_segment_size: 88
    .language:       OpenCL C
    .language_version:
      - 2
      - 0
    .max_flat_workgroup_size: 156
    .name:           fft_rtc_back_len1716_factors_13_2_6_11_wgs_156_tpt_156_dp_ip_CI_sbrr_dirReg
    .private_segment_fixed_size: 0
    .sgpr_count:     46
    .sgpr_spill_count: 0
    .symbol:         fft_rtc_back_len1716_factors_13_2_6_11_wgs_156_tpt_156_dp_ip_CI_sbrr_dirReg.kd
    .uniform_work_group_size: 1
    .uses_dynamic_stack: false
    .vgpr_count:     254
    .vgpr_spill_count: 0
    .wavefront_size: 32
    .workgroup_processor_mode: 1
amdhsa.target:   amdgcn-amd-amdhsa--gfx1030
amdhsa.version:
  - 1
  - 2
...

	.end_amdgpu_metadata
